;; amdgpu-corpus repo=ROCm/rocFFT kind=compiled arch=gfx1030 opt=O3
	.text
	.amdgcn_target "amdgcn-amd-amdhsa--gfx1030"
	.amdhsa_code_object_version 6
	.protected	fft_rtc_fwd_len1694_factors_11_2_11_7_wgs_154_tpt_154_halfLds_sp_op_CI_CI_unitstride_sbrr_dirReg ; -- Begin function fft_rtc_fwd_len1694_factors_11_2_11_7_wgs_154_tpt_154_halfLds_sp_op_CI_CI_unitstride_sbrr_dirReg
	.globl	fft_rtc_fwd_len1694_factors_11_2_11_7_wgs_154_tpt_154_halfLds_sp_op_CI_CI_unitstride_sbrr_dirReg
	.p2align	8
	.type	fft_rtc_fwd_len1694_factors_11_2_11_7_wgs_154_tpt_154_halfLds_sp_op_CI_CI_unitstride_sbrr_dirReg,@function
fft_rtc_fwd_len1694_factors_11_2_11_7_wgs_154_tpt_154_halfLds_sp_op_CI_CI_unitstride_sbrr_dirReg: ; @fft_rtc_fwd_len1694_factors_11_2_11_7_wgs_154_tpt_154_halfLds_sp_op_CI_CI_unitstride_sbrr_dirReg
; %bb.0:
	s_clause 0x2
	s_load_dwordx4 s[8:11], s[4:5], 0x0
	s_load_dwordx4 s[12:15], s[4:5], 0x58
	;; [unrolled: 1-line block ×3, first 2 shown]
	v_mul_u32_u24_e32 v2, 0x1aa, v0
	v_mov_b32_e32 v1, 0
	v_mov_b32_e32 v12, 0
	;; [unrolled: 1-line block ×3, first 2 shown]
	v_add_nc_u32_sdwa v3, s6, v2 dst_sel:DWORD dst_unused:UNUSED_PAD src0_sel:DWORD src1_sel:WORD_1
	v_mov_b32_e32 v4, v1
	s_waitcnt lgkmcnt(0)
	v_cmp_lt_u64_e64 s0, s[10:11], 2
	s_and_b32 vcc_lo, exec_lo, s0
	s_cbranch_vccnz .LBB0_8
; %bb.1:
	s_load_dwordx2 s[0:1], s[4:5], 0x10
	v_mov_b32_e32 v12, 0
	v_mov_b32_e32 v13, 0
	s_add_u32 s2, s18, 8
	s_addc_u32 s3, s19, 0
	s_add_u32 s6, s16, 8
	s_addc_u32 s7, s17, 0
	v_mov_b32_e32 v17, v13
	v_mov_b32_e32 v16, v12
	s_mov_b64 s[22:23], 1
	s_waitcnt lgkmcnt(0)
	s_add_u32 s20, s0, 8
	s_addc_u32 s21, s1, 0
.LBB0_2:                                ; =>This Inner Loop Header: Depth=1
	s_load_dwordx2 s[24:25], s[20:21], 0x0
                                        ; implicit-def: $vgpr18_vgpr19
	s_mov_b32 s0, exec_lo
	s_waitcnt lgkmcnt(0)
	v_or_b32_e32 v2, s25, v4
	v_cmpx_ne_u64_e32 0, v[1:2]
	s_xor_b32 s1, exec_lo, s0
	s_cbranch_execz .LBB0_4
; %bb.3:                                ;   in Loop: Header=BB0_2 Depth=1
	v_cvt_f32_u32_e32 v2, s24
	v_cvt_f32_u32_e32 v5, s25
	s_sub_u32 s0, 0, s24
	s_subb_u32 s26, 0, s25
	v_fmac_f32_e32 v2, 0x4f800000, v5
	v_rcp_f32_e32 v2, v2
	v_mul_f32_e32 v2, 0x5f7ffffc, v2
	v_mul_f32_e32 v5, 0x2f800000, v2
	v_trunc_f32_e32 v5, v5
	v_fmac_f32_e32 v2, 0xcf800000, v5
	v_cvt_u32_f32_e32 v5, v5
	v_cvt_u32_f32_e32 v2, v2
	v_mul_lo_u32 v6, s0, v5
	v_mul_hi_u32 v7, s0, v2
	v_mul_lo_u32 v8, s26, v2
	v_add_nc_u32_e32 v6, v7, v6
	v_mul_lo_u32 v7, s0, v2
	v_add_nc_u32_e32 v6, v6, v8
	v_mul_hi_u32 v8, v2, v7
	v_mul_lo_u32 v9, v2, v6
	v_mul_hi_u32 v10, v2, v6
	v_mul_hi_u32 v11, v5, v7
	v_mul_lo_u32 v7, v5, v7
	v_mul_hi_u32 v14, v5, v6
	v_mul_lo_u32 v6, v5, v6
	v_add_co_u32 v8, vcc_lo, v8, v9
	v_add_co_ci_u32_e32 v9, vcc_lo, 0, v10, vcc_lo
	v_add_co_u32 v7, vcc_lo, v8, v7
	v_add_co_ci_u32_e32 v7, vcc_lo, v9, v11, vcc_lo
	v_add_co_ci_u32_e32 v8, vcc_lo, 0, v14, vcc_lo
	v_add_co_u32 v6, vcc_lo, v7, v6
	v_add_co_ci_u32_e32 v7, vcc_lo, 0, v8, vcc_lo
	v_add_co_u32 v2, vcc_lo, v2, v6
	v_add_co_ci_u32_e32 v5, vcc_lo, v5, v7, vcc_lo
	v_mul_hi_u32 v6, s0, v2
	v_mul_lo_u32 v8, s26, v2
	v_mul_lo_u32 v7, s0, v5
	v_add_nc_u32_e32 v6, v6, v7
	v_mul_lo_u32 v7, s0, v2
	v_add_nc_u32_e32 v6, v6, v8
	v_mul_hi_u32 v8, v2, v7
	v_mul_lo_u32 v9, v2, v6
	v_mul_hi_u32 v10, v2, v6
	v_mul_hi_u32 v11, v5, v7
	v_mul_lo_u32 v7, v5, v7
	v_mul_hi_u32 v14, v5, v6
	v_mul_lo_u32 v6, v5, v6
	v_add_co_u32 v8, vcc_lo, v8, v9
	v_add_co_ci_u32_e32 v9, vcc_lo, 0, v10, vcc_lo
	v_add_co_u32 v7, vcc_lo, v8, v7
	v_add_co_ci_u32_e32 v7, vcc_lo, v9, v11, vcc_lo
	v_add_co_ci_u32_e32 v8, vcc_lo, 0, v14, vcc_lo
	v_add_co_u32 v6, vcc_lo, v7, v6
	v_add_co_ci_u32_e32 v7, vcc_lo, 0, v8, vcc_lo
	v_add_co_u32 v2, vcc_lo, v2, v6
	v_add_co_ci_u32_e32 v9, vcc_lo, v5, v7, vcc_lo
	v_mul_hi_u32 v11, v3, v2
	v_mad_u64_u32 v[7:8], null, v4, v2, 0
	v_mad_u64_u32 v[5:6], null, v3, v9, 0
	;; [unrolled: 1-line block ×3, first 2 shown]
	v_add_co_u32 v2, vcc_lo, v11, v5
	v_add_co_ci_u32_e32 v5, vcc_lo, 0, v6, vcc_lo
	v_add_co_u32 v2, vcc_lo, v2, v7
	v_add_co_ci_u32_e32 v2, vcc_lo, v5, v8, vcc_lo
	v_add_co_ci_u32_e32 v5, vcc_lo, 0, v10, vcc_lo
	v_add_co_u32 v2, vcc_lo, v2, v9
	v_add_co_ci_u32_e32 v7, vcc_lo, 0, v5, vcc_lo
	v_mul_lo_u32 v8, s25, v2
	v_mad_u64_u32 v[5:6], null, s24, v2, 0
	v_mul_lo_u32 v9, s24, v7
	v_sub_co_u32 v5, vcc_lo, v3, v5
	v_add3_u32 v6, v6, v9, v8
	v_sub_nc_u32_e32 v8, v4, v6
	v_subrev_co_ci_u32_e64 v8, s0, s25, v8, vcc_lo
	v_add_co_u32 v9, s0, v2, 2
	v_add_co_ci_u32_e64 v10, s0, 0, v7, s0
	v_sub_co_u32 v11, s0, v5, s24
	v_sub_co_ci_u32_e32 v6, vcc_lo, v4, v6, vcc_lo
	v_subrev_co_ci_u32_e64 v8, s0, 0, v8, s0
	v_cmp_le_u32_e32 vcc_lo, s24, v11
	v_cmp_eq_u32_e64 s0, s25, v6
	v_cndmask_b32_e64 v11, 0, -1, vcc_lo
	v_cmp_le_u32_e32 vcc_lo, s25, v8
	v_cndmask_b32_e64 v14, 0, -1, vcc_lo
	v_cmp_le_u32_e32 vcc_lo, s24, v5
	;; [unrolled: 2-line block ×3, first 2 shown]
	v_cndmask_b32_e64 v15, 0, -1, vcc_lo
	v_cmp_eq_u32_e32 vcc_lo, s25, v8
	v_cndmask_b32_e64 v5, v15, v5, s0
	v_cndmask_b32_e32 v8, v14, v11, vcc_lo
	v_add_co_u32 v11, vcc_lo, v2, 1
	v_add_co_ci_u32_e32 v14, vcc_lo, 0, v7, vcc_lo
	v_cmp_ne_u32_e32 vcc_lo, 0, v8
	v_cndmask_b32_e32 v6, v14, v10, vcc_lo
	v_cndmask_b32_e32 v8, v11, v9, vcc_lo
	v_cmp_ne_u32_e32 vcc_lo, 0, v5
	v_cndmask_b32_e32 v19, v7, v6, vcc_lo
	v_cndmask_b32_e32 v18, v2, v8, vcc_lo
.LBB0_4:                                ;   in Loop: Header=BB0_2 Depth=1
	s_andn2_saveexec_b32 s0, s1
	s_cbranch_execz .LBB0_6
; %bb.5:                                ;   in Loop: Header=BB0_2 Depth=1
	v_cvt_f32_u32_e32 v2, s24
	s_sub_i32 s1, 0, s24
	v_mov_b32_e32 v19, v1
	v_rcp_iflag_f32_e32 v2, v2
	v_mul_f32_e32 v2, 0x4f7ffffe, v2
	v_cvt_u32_f32_e32 v2, v2
	v_mul_lo_u32 v5, s1, v2
	v_mul_hi_u32 v5, v2, v5
	v_add_nc_u32_e32 v2, v2, v5
	v_mul_hi_u32 v2, v3, v2
	v_mul_lo_u32 v5, v2, s24
	v_add_nc_u32_e32 v6, 1, v2
	v_sub_nc_u32_e32 v5, v3, v5
	v_subrev_nc_u32_e32 v7, s24, v5
	v_cmp_le_u32_e32 vcc_lo, s24, v5
	v_cndmask_b32_e32 v5, v5, v7, vcc_lo
	v_cndmask_b32_e32 v2, v2, v6, vcc_lo
	v_cmp_le_u32_e32 vcc_lo, s24, v5
	v_add_nc_u32_e32 v6, 1, v2
	v_cndmask_b32_e32 v18, v2, v6, vcc_lo
.LBB0_6:                                ;   in Loop: Header=BB0_2 Depth=1
	s_or_b32 exec_lo, exec_lo, s0
	v_mul_lo_u32 v2, v19, s24
	v_mul_lo_u32 v7, v18, s25
	s_load_dwordx2 s[0:1], s[6:7], 0x0
	v_mad_u64_u32 v[5:6], null, v18, s24, 0
	s_load_dwordx2 s[24:25], s[2:3], 0x0
	s_add_u32 s22, s22, 1
	s_addc_u32 s23, s23, 0
	s_add_u32 s2, s2, 8
	s_addc_u32 s3, s3, 0
	s_add_u32 s6, s6, 8
	v_add3_u32 v2, v6, v7, v2
	v_sub_co_u32 v3, vcc_lo, v3, v5
	s_addc_u32 s7, s7, 0
	s_add_u32 s20, s20, 8
	v_sub_co_ci_u32_e32 v2, vcc_lo, v4, v2, vcc_lo
	s_addc_u32 s21, s21, 0
	s_waitcnt lgkmcnt(0)
	v_mul_lo_u32 v4, s0, v2
	v_mul_lo_u32 v5, s1, v3
	v_mad_u64_u32 v[12:13], null, s0, v3, v[12:13]
	v_mul_lo_u32 v2, s24, v2
	v_mul_lo_u32 v6, s25, v3
	v_mad_u64_u32 v[16:17], null, s24, v3, v[16:17]
	v_cmp_ge_u64_e64 s0, s[22:23], s[10:11]
	v_add3_u32 v13, v5, v13, v4
	v_add3_u32 v17, v6, v17, v2
	s_and_b32 vcc_lo, exec_lo, s0
	s_cbranch_vccnz .LBB0_9
; %bb.7:                                ;   in Loop: Header=BB0_2 Depth=1
	v_mov_b32_e32 v3, v18
	v_mov_b32_e32 v4, v19
	s_branch .LBB0_2
.LBB0_8:
	v_mov_b32_e32 v17, v13
	v_mov_b32_e32 v19, v4
	;; [unrolled: 1-line block ×4, first 2 shown]
.LBB0_9:
	s_load_dwordx2 s[0:1], s[4:5], 0x28
	v_mul_hi_u32 v2, 0x1a98ef7, v0
	s_lshl_b64 s[4:5], s[10:11], 3
                                        ; implicit-def: $sgpr6_sgpr7
                                        ; implicit-def: $vgpr38
	s_add_u32 s2, s18, s4
	s_addc_u32 s3, s19, s5
	s_waitcnt lgkmcnt(0)
	v_cmp_gt_u64_e32 vcc_lo, s[0:1], v[18:19]
	v_cmp_le_u64_e64 s0, s[0:1], v[18:19]
	s_and_saveexec_b32 s1, s0
	s_xor_b32 s0, exec_lo, s1
; %bb.10:
	v_mul_u32_u24_e32 v1, 0x9a, v2
	s_mov_b64 s[6:7], 0
                                        ; implicit-def: $vgpr2
                                        ; implicit-def: $vgpr12_vgpr13
	v_sub_nc_u32_e32 v38, v0, v1
                                        ; implicit-def: $vgpr0
; %bb.11:
	s_or_saveexec_b32 s1, s0
	v_mov_b32_e32 v9, s7
	v_mov_b32_e32 v8, s6
                                        ; implicit-def: $vgpr35
                                        ; implicit-def: $vgpr33
                                        ; implicit-def: $vgpr11
                                        ; implicit-def: $vgpr5
                                        ; implicit-def: $vgpr1
                                        ; implicit-def: $vgpr3
                                        ; implicit-def: $vgpr7
                                        ; implicit-def: $vgpr21
                                        ; implicit-def: $vgpr31
                                        ; implicit-def: $vgpr29
	s_xor_b32 exec_lo, exec_lo, s1
	s_cbranch_execz .LBB0_13
; %bb.12:
	s_add_u32 s4, s16, s4
	s_addc_u32 s5, s17, s5
	s_load_dwordx2 s[4:5], s[4:5], 0x0
	s_waitcnt lgkmcnt(0)
	v_mul_lo_u32 v1, s5, v18
	v_mul_lo_u32 v5, s4, v19
	v_mad_u64_u32 v[3:4], null, s4, v18, 0
	v_add3_u32 v4, v4, v5, v1
	v_mul_u32_u24_e32 v5, 0x9a, v2
	v_lshlrev_b64 v[1:2], 3, v[3:4]
	v_lshlrev_b64 v[3:4], 3, v[12:13]
	v_sub_nc_u32_e32 v38, v0, v5
	v_add_co_u32 v0, s0, s12, v1
	v_add_co_ci_u32_e64 v1, s0, s13, v2, s0
	v_lshlrev_b32_e32 v2, 3, v38
	v_add_co_u32 v0, s0, v0, v3
	v_add_co_ci_u32_e64 v1, s0, v1, v4, s0
	v_add_co_u32 v0, s0, v0, v2
	v_add_co_ci_u32_e64 v1, s0, 0, v1, s0
	;; [unrolled: 2-line block ×8, first 2 shown]
	s_clause 0xa
	global_load_dwordx2 v[8:9], v[0:1], off
	global_load_dwordx2 v[34:35], v[0:1], off offset:1232
	global_load_dwordx2 v[32:33], v[2:3], off offset:416
	;; [unrolled: 1-line block ×10, first 2 shown]
.LBB0_13:
	s_or_b32 exec_lo, exec_lo, s1
	s_waitcnt vmcnt(0)
	v_add_f32_e32 v13, v34, v28
	v_sub_f32_e32 v14, v35, v29
	v_add_f32_e32 v15, v32, v30
	v_sub_f32_e32 v22, v33, v31
	v_add_f32_e32 v12, v34, v8
	v_mul_f32_e32 v23, 0x3f575c64, v13
	v_mul_f32_e32 v24, 0x3ed4b147, v13
	;; [unrolled: 1-line block ×6, first 2 shown]
	v_fmamk_f32 v39, v14, 0x3f0a6770, v23
	v_fmac_f32_e32 v23, 0xbf0a6770, v14
	v_mul_f32_e32 v36, 0xbf27a4f4, v15
	v_mul_f32_e32 v37, 0xbf75a155, v15
	v_fmamk_f32 v40, v14, 0x3f68dda4, v24
	v_fmac_f32_e32 v24, 0xbf68dda4, v14
	v_fmamk_f32 v41, v14, 0x3f7d64f0, v25
	v_fmac_f32_e32 v25, 0xbf7d64f0, v14
	v_fmamk_f32 v42, v14, 0x3f4178ce, v26
	v_fmac_f32_e32 v26, 0xbf4178ce, v14
	v_fmamk_f32 v43, v14, 0x3e903f40, v13
	v_fmac_f32_e32 v13, 0xbe903f40, v14
	v_fmamk_f32 v14, v22, 0x3f68dda4, v27
	v_fmac_f32_e32 v27, 0xbf68dda4, v22
	v_add_f32_e32 v39, v39, v8
	v_add_f32_e32 v23, v23, v8
	;; [unrolled: 1-line block ×11, first 2 shown]
	v_fmamk_f32 v14, v22, 0x3f4178ce, v36
	v_fmac_f32_e32 v36, 0xbf4178ce, v22
	v_add_f32_e32 v23, v27, v23
	v_fmamk_f32 v27, v22, 0xbe903f40, v37
	v_fmac_f32_e32 v37, 0x3e903f40, v22
	v_add_f32_e32 v14, v14, v40
	v_add_f32_e32 v24, v36, v24
	v_mul_f32_e32 v36, 0xbe11bafb, v15
	v_mul_f32_e32 v15, 0x3f575c64, v15
	v_add_f32_e32 v25, v37, v25
	v_add_f32_e32 v37, v10, v20
	;; [unrolled: 1-line block ×3, first 2 shown]
	v_fmamk_f32 v39, v22, 0xbf7d64f0, v36
	v_sub_f32_e32 v40, v11, v21
	v_fmamk_f32 v44, v22, 0xbf0a6770, v15
	v_mul_f32_e32 v41, 0xbe11bafb, v37
	v_fmac_f32_e32 v15, 0x3f0a6770, v22
	v_fmac_f32_e32 v36, 0x3f7d64f0, v22
	v_add_f32_e32 v39, v39, v42
	v_mul_f32_e32 v42, 0xbf75a155, v37
	v_fmamk_f32 v22, v40, 0x3f7d64f0, v41
	v_fmac_f32_e32 v41, 0xbf7d64f0, v40
	v_add_f32_e32 v8, v15, v8
	v_mul_f32_e32 v15, 0x3ed4b147, v37
	v_add_f32_e32 v26, v36, v26
	v_add_f32_e32 v36, v44, v43
	;; [unrolled: 1-line block ×3, first 2 shown]
	v_fmamk_f32 v22, v40, 0xbe903f40, v42
	v_add_f32_e32 v23, v41, v23
	v_fmac_f32_e32 v42, 0x3e903f40, v40
	v_mul_f32_e32 v41, 0x3f575c64, v37
	v_fmamk_f32 v43, v40, 0xbf68dda4, v15
	v_fmac_f32_e32 v15, 0x3f68dda4, v40
	v_add_f32_e32 v14, v22, v14
	v_add_f32_e32 v22, v42, v24
	v_fmamk_f32 v24, v40, 0x3f0a6770, v41
	v_mul_f32_e32 v37, 0xbf27a4f4, v37
	v_add_f32_e32 v15, v15, v25
	v_add_f32_e32 v25, v4, v6
	;; [unrolled: 1-line block ×4, first 2 shown]
	v_fmamk_f32 v39, v40, 0x3f4178ce, v37
	v_sub_f32_e32 v42, v5, v7
	v_mul_f32_e32 v43, 0xbf27a4f4, v25
	v_fmac_f32_e32 v37, 0xbf4178ce, v40
	v_fmac_f32_e32 v41, 0xbf0a6770, v40
	v_add_f32_e32 v36, v39, v36
	v_mul_f32_e32 v39, 0xbe11bafb, v25
	v_fmamk_f32 v40, v42, 0x3f4178ce, v43
	v_add_f32_e32 v8, v37, v8
	v_mul_f32_e32 v37, 0x3f575c64, v25
	v_add_f32_e32 v12, v32, v12
	v_add_f32_e32 v26, v41, v26
	v_fmamk_f32 v41, v42, 0xbf7d64f0, v39
	v_add_f32_e32 v13, v40, v13
	v_fmac_f32_e32 v39, 0x3f7d64f0, v42
	v_fmamk_f32 v40, v42, 0x3f0a6770, v37
	v_fmac_f32_e32 v37, 0xbf0a6770, v42
	v_add_f32_e32 v12, v10, v12
	v_fmac_f32_e32 v43, 0xbf4178ce, v42
	v_add_f32_e32 v22, v39, v22
	v_mul_f32_e32 v39, 0xbf75a155, v25
	v_add_f32_e32 v15, v37, v15
	v_add_f32_e32 v37, v0, v2
	;; [unrolled: 1-line block ×5, first 2 shown]
	v_mul_f32_e32 v25, 0x3ed4b147, v25
	v_fmamk_f32 v40, v42, 0x3e903f40, v39
	v_fmac_f32_e32 v39, 0xbe903f40, v42
	v_sub_f32_e32 v43, v1, v3
	v_mul_f32_e32 v44, 0xbf75a155, v37
	v_add_f32_e32 v12, v0, v12
	v_add_f32_e32 v14, v41, v14
	v_fmamk_f32 v41, v42, 0xbf68dda4, v25
	v_add_f32_e32 v24, v40, v24
	v_fmac_f32_e32 v25, 0x3f68dda4, v42
	v_add_f32_e32 v26, v39, v26
	v_fmamk_f32 v39, v43, 0x3e903f40, v44
	v_mul_f32_e32 v40, 0x3f575c64, v37
	v_add_f32_e32 v12, v2, v12
	v_add_f32_e32 v25, v25, v8
	v_fmac_f32_e32 v44, 0xbe903f40, v43
	v_add_f32_e32 v13, v39, v13
	v_fmamk_f32 v8, v43, 0xbf0a6770, v40
	v_mul_f32_e32 v39, 0x3ed4b147, v37
	v_add_f32_e32 v12, v6, v12
	v_mul_f32_e32 v42, 0xbf27a4f4, v37
	v_add_f32_e32 v36, v41, v36
	v_add_f32_e32 v14, v8, v14
	v_fmamk_f32 v8, v43, 0xbf68dda4, v39
	v_add_f32_e32 v12, v20, v12
	v_fmac_f32_e32 v40, 0x3f0a6770, v43
	v_add_f32_e32 v41, v44, v23
	v_fmamk_f32 v23, v43, 0x3f4178ce, v42
	v_mul_f32_e32 v37, 0xbe11bafb, v37
	v_add_f32_e32 v24, v8, v24
	v_mad_u32_u24 v8, v38, 44, 0
	v_add_f32_e32 v12, v30, v12
	v_add_f32_e32 v22, v40, v22
	;; [unrolled: 1-line block ×3, first 2 shown]
	v_fmamk_f32 v27, v43, 0x3f7d64f0, v37
	v_mad_i32_i24 v40, 0xffffffd8, v38, v8
	v_fmac_f32_e32 v37, 0xbf7d64f0, v43
	v_fmac_f32_e32 v39, 0x3f68dda4, v43
	;; [unrolled: 1-line block ×3, first 2 shown]
	v_add_f32_e32 v12, v28, v12
	v_add_f32_e32 v27, v27, v36
	v_add_nc_u32_e32 v36, 0x980, v40
	v_add_f32_e32 v25, v37, v25
	v_add_nc_u32_e32 v37, 0xf00, v40
	;; [unrolled: 2-line block ×4, first 2 shown]
	s_load_dwordx2 s[2:3], s[2:3], 0x0
	ds_write2_b32 v8, v12, v13 offset1:1
	ds_write2_b32 v8, v14, v23 offset0:2 offset1:3
	ds_write2_b32 v8, v24, v27 offset0:4 offset1:5
	;; [unrolled: 1-line block ×4, first 2 shown]
	ds_write_b32 v8, v41 offset:40
	s_waitcnt lgkmcnt(0)
	s_barrier
	buffer_gl0_inv
	ds_read2_b32 v[24:25], v40 offset1:154
	ds_read2_b32 v[22:23], v36 offset0:8 offset1:239
	ds_read2_b32 v[14:15], v37 offset0:41 offset1:195
	;; [unrolled: 1-line block ×4, first 2 shown]
	v_cmp_gt_u32_e64 s0, 0x4d, v38
                                        ; implicit-def: $vgpr42
	s_and_saveexec_b32 s1, s0
	s_cbranch_execz .LBB0_15
; %bb.14:
	ds_read_b32 v41, v40 offset:3080
	ds_read_b32 v42, v40 offset:6468
.LBB0_15:
	s_or_b32 exec_lo, exec_lo, s1
	v_add_f32_e32 v43, v35, v9
	v_sub_f32_e32 v30, v32, v30
	v_sub_f32_e32 v28, v34, v28
	v_add_f32_e32 v34, v35, v29
	v_add_f32_e32 v35, v33, v31
	;; [unrolled: 1-line block ×3, first 2 shown]
	v_mul_f32_e32 v48, 0xbf4178ce, v30
	v_mul_f32_e32 v43, 0xbf68dda4, v28
	;; [unrolled: 1-line block ×4, first 2 shown]
	v_add_f32_e32 v32, v11, v32
	v_mul_f32_e32 v46, 0xbf4178ce, v28
	v_fmamk_f32 v51, v34, 0x3ed4b147, v43
	v_fma_f32 v43, 0x3ed4b147, v34, -v43
	v_mul_f32_e32 v28, 0xbe903f40, v28
	v_add_f32_e32 v32, v5, v32
	v_mul_f32_e32 v49, 0x3e903f40, v30
	v_fmamk_f32 v52, v34, 0xbe11bafb, v45
	v_fma_f32 v45, 0xbe11bafb, v34, -v45
	v_add_f32_e32 v43, v43, v9
	v_add_f32_e32 v32, v1, v32
	v_mul_f32_e32 v47, 0xbf68dda4, v30
	v_fmamk_f32 v50, v34, 0x3f575c64, v33
	v_fmamk_f32 v53, v34, 0xbf27a4f4, v46
	v_fma_f32 v46, 0xbf27a4f4, v34, -v46
	v_add_f32_e32 v32, v3, v32
	v_fmamk_f32 v54, v34, 0xbf75a155, v28
	v_fmamk_f32 v55, v35, 0xbf27a4f4, v48
	v_add_f32_e32 v45, v45, v9
	v_sub_f32_e32 v10, v10, v20
	v_add_f32_e32 v32, v7, v32
	v_fma_f32 v33, 0x3f575c64, v34, -v33
	v_fma_f32 v28, 0xbf75a155, v34, -v28
	v_fmamk_f32 v34, v35, 0x3ed4b147, v47
	v_add_f32_e32 v50, v50, v9
	v_add_f32_e32 v32, v21, v32
	;; [unrolled: 1-line block ×3, first 2 shown]
	v_mul_f32_e32 v21, 0xbf7d64f0, v10
	v_fma_f32 v47, 0x3ed4b147, v35, -v47
	v_add_f32_e32 v33, v33, v9
	v_add_f32_e32 v31, v31, v32
	;; [unrolled: 1-line block ×7, first 2 shown]
	v_fma_f32 v31, 0xbf27a4f4, v35, -v48
	v_fma_f32 v48, 0xbf75a155, v35, -v49
	v_add_f32_e32 v53, v53, v9
	v_add_f32_e32 v9, v28, v9
	;; [unrolled: 1-line block ×4, first 2 shown]
	v_mul_f32_e32 v43, 0x3f7d64f0, v30
	v_mul_f32_e32 v30, 0x3f0a6770, v30
	v_add_f32_e32 v45, v48, v45
	v_fmamk_f32 v34, v35, 0xbf75a155, v49
	v_add_f32_e32 v33, v47, v33
	v_fmamk_f32 v20, v35, 0xbe11bafb, v43
	v_fma_f32 v43, 0xbe11bafb, v35, -v43
	v_fmamk_f32 v48, v35, 0x3f575c64, v30
	v_fma_f32 v30, 0x3f575c64, v35, -v30
	v_add_f32_e32 v34, v34, v52
	v_sub_f32_e32 v4, v4, v6
	v_add_f32_e32 v32, v43, v32
	v_add_f32_e32 v35, v48, v46
	v_fmamk_f32 v43, v11, 0xbe11bafb, v21
	v_mul_f32_e32 v46, 0x3e903f40, v10
	v_add_f32_e32 v9, v30, v9
	v_fma_f32 v21, 0xbe11bafb, v11, -v21
	v_mul_f32_e32 v30, 0x3f68dda4, v10
	v_add_f32_e32 v28, v43, v28
	v_fmamk_f32 v43, v11, 0xbf75a155, v46
	v_fma_f32 v46, 0xbf75a155, v11, -v46
	v_add_f32_e32 v21, v21, v33
	v_fmamk_f32 v33, v11, 0x3ed4b147, v30
	v_add_f32_e32 v20, v20, v53
	v_fma_f32 v30, 0x3ed4b147, v11, -v30
	v_add_f32_e32 v31, v46, v31
	v_mul_f32_e32 v46, 0xbf0a6770, v10
	v_add_f32_e32 v33, v33, v34
	v_mul_f32_e32 v6, 0xbf4178ce, v10
	;; [unrolled: 2-line block ×3, first 2 shown]
	v_fmamk_f32 v10, v11, 0x3f575c64, v46
	v_fma_f32 v34, 0x3f575c64, v11, -v46
	v_add_f32_e32 v30, v30, v45
	v_fmamk_f32 v45, v11, 0xbf27a4f4, v6
	v_fma_f32 v6, 0xbf27a4f4, v11, -v6
	v_add_f32_e32 v10, v10, v20
	v_add_f32_e32 v20, v34, v32
	v_fmamk_f32 v11, v5, 0xbf27a4f4, v7
	v_mul_f32_e32 v34, 0x3f7d64f0, v4
	v_fma_f32 v7, 0xbf27a4f4, v5, -v7
	v_add_f32_e32 v6, v6, v9
	v_add_f32_e32 v47, v55, v51
	;; [unrolled: 1-line block ×3, first 2 shown]
	v_fmamk_f32 v28, v5, 0xbe11bafb, v34
	v_add_f32_e32 v7, v7, v21
	v_fma_f32 v21, 0xbe11bafb, v5, -v34
	v_mul_f32_e32 v34, 0xbe903f40, v4
	v_mul_f32_e32 v11, 0xbf0a6770, v4
	v_add_f32_e32 v32, v45, v35
	v_mul_f32_e32 v4, 0x3f68dda4, v4
	v_add_f32_e32 v21, v21, v31
	v_fmamk_f32 v31, v5, 0xbf75a155, v34
	v_fmamk_f32 v35, v5, 0x3f575c64, v11
	v_fma_f32 v11, 0x3f575c64, v5, -v11
	v_sub_f32_e32 v0, v0, v2
	v_add_f32_e32 v43, v43, v47
	v_add_f32_e32 v2, v31, v10
	v_fma_f32 v10, 0xbf75a155, v5, -v34
	v_add_f32_e32 v11, v11, v30
	v_fmamk_f32 v30, v5, 0x3ed4b147, v4
	v_add_f32_e32 v1, v1, v3
	v_mul_f32_e32 v3, 0xbe903f40, v0
	v_fma_f32 v4, 0x3ed4b147, v5, -v4
	v_add_f32_e32 v5, v10, v20
	v_mul_f32_e32 v20, 0x3f0a6770, v0
	v_add_f32_e32 v28, v28, v43
	v_add_f32_e32 v10, v30, v32
	v_fmamk_f32 v30, v1, 0xbf75a155, v3
	v_fma_f32 v3, 0xbf75a155, v1, -v3
	v_fmamk_f32 v31, v1, 0x3f575c64, v20
	v_add_f32_e32 v4, v4, v6
	v_mul_f32_e32 v6, 0xbf4178ce, v0
	v_fma_f32 v20, 0x3f575c64, v1, -v20
	v_add_f32_e32 v43, v3, v7
	v_add_f32_e32 v7, v31, v28
	v_mul_f32_e32 v28, 0x3f68dda4, v0
	v_mul_f32_e32 v0, 0xbf7d64f0, v0
	v_add_f32_e32 v33, v35, v33
	v_fmamk_f32 v3, v1, 0xbf27a4f4, v6
	v_add_f32_e32 v9, v30, v9
	v_add_f32_e32 v20, v20, v21
	v_fma_f32 v6, 0xbf27a4f4, v1, -v6
	v_fmamk_f32 v21, v1, 0x3ed4b147, v28
	v_fmamk_f32 v30, v1, 0xbe11bafb, v0
	v_fma_f32 v28, 0x3ed4b147, v1, -v28
	v_fma_f32 v0, 0xbe11bafb, v1, -v0
	v_add_f32_e32 v3, v3, v33
	v_add_f32_e32 v1, v6, v11
	;; [unrolled: 1-line block ×6, first 2 shown]
	s_waitcnt lgkmcnt(0)
	s_barrier
	buffer_gl0_inv
	ds_write2_b32 v8, v29, v9 offset1:1
	ds_write2_b32 v8, v7, v3 offset0:2 offset1:3
	ds_write2_b32 v8, v2, v6 offset0:4 offset1:5
	;; [unrolled: 1-line block ×4, first 2 shown]
	ds_write_b32 v8, v43 offset:40
	s_waitcnt lgkmcnt(0)
	s_barrier
	buffer_gl0_inv
	ds_read2_b32 v[2:3], v40 offset1:154
	ds_read2_b32 v[0:1], v36 offset0:8 offset1:239
	ds_read2_b32 v[6:7], v37 offset0:41 offset1:195
	;; [unrolled: 1-line block ×4, first 2 shown]
                                        ; implicit-def: $vgpr21
	s_and_saveexec_b32 s1, s0
	s_cbranch_execz .LBB0_17
; %bb.16:
	ds_read_b32 v43, v40 offset:3080
	ds_read_b32 v21, v40 offset:6468
.LBB0_17:
	s_or_b32 exec_lo, exec_lo, s1
	v_and_b32_e32 v10, 0xff, v38
	v_mov_b32_e32 v29, 0xba2f
	v_add_nc_u32_e32 v30, 0x268, v38
	v_add_nc_u32_e32 v39, 0x9a, v38
	v_add_nc_u32_e32 v11, 0x134, v38
	v_mul_lo_u16 v10, 0x75, v10
	v_add_nc_u32_e32 v20, 0x1ce, v38
	v_add_nc_u32_e32 v31, 0x302, v38
	v_mul_u32_u24_sdwa v36, v30, v29 dst_sel:DWORD dst_unused:UNUSED_PAD src0_sel:WORD_0 src1_sel:DWORD
	v_mul_u32_u24_sdwa v33, v39, v29 dst_sel:DWORD dst_unused:UNUSED_PAD src0_sel:WORD_0 src1_sel:DWORD
	v_lshrrev_b16 v10, 8, v10
	v_mul_u32_u24_sdwa v34, v11, v29 dst_sel:DWORD dst_unused:UNUSED_PAD src0_sel:WORD_0 src1_sel:DWORD
	v_mul_u32_u24_sdwa v35, v20, v29 dst_sel:DWORD dst_unused:UNUSED_PAD src0_sel:WORD_0 src1_sel:DWORD
	;; [unrolled: 1-line block ×3, first 2 shown]
	v_lshrrev_b32_e32 v47, 19, v36
	v_sub_nc_u16 v28, v38, v10
	v_lshrrev_b32_e32 v45, 19, v33
	v_lshrrev_b32_e32 v46, 19, v34
	;; [unrolled: 1-line block ×3, first 2 shown]
	v_mul_lo_u16 v29, v47, 11
	v_lshrrev_b16 v28, 1, v28
	v_lshrrev_b32_e32 v48, 19, v35
	v_mov_b32_e32 v32, 3
	v_mul_lo_u16 v34, v49, 11
	v_sub_nc_u16 v52, v30, v29
	v_and_b32_e32 v28, 0x7f, v28
	v_mul_lo_u16 v33, v48, 11
	v_mov_b32_e32 v51, 2
	v_sub_nc_u16 v44, v31, v34
	v_mov_b32_e32 v56, 0x58
	v_add_nc_u16 v10, v28, v10
	v_mul_lo_u16 v28, v45, 11
	v_sub_nc_u16 v20, v20, v33
	v_mul_u32_u24_e32 v48, 0x58, v48
	v_mul_u32_u24_e32 v59, 0x58, v47
	v_lshrrev_b16 v50, 3, v10
	v_mul_lo_u16 v10, v46, 11
	v_sub_nc_u16 v53, v39, v28
	v_lshlrev_b32_sdwa v28, v32, v44 dst_sel:DWORD dst_unused:UNUSED_PAD src0_sel:DWORD src1_sel:WORD_0
	v_lshlrev_b32_sdwa v34, v32, v20 dst_sel:DWORD dst_unused:UNUSED_PAD src0_sel:DWORD src1_sel:WORD_0
	v_mul_lo_u16 v29, v50, 11
	v_sub_nc_u16 v54, v11, v10
	v_lshlrev_b32_sdwa v10, v32, v52 dst_sel:DWORD dst_unused:UNUSED_PAD src0_sel:DWORD src1_sel:WORD_0
	v_lshlrev_b32_sdwa v30, v32, v53 dst_sel:DWORD dst_unused:UNUSED_PAD src0_sel:DWORD src1_sel:WORD_0
	;; [unrolled: 1-line block ×3, first 2 shown]
	v_sub_nc_u16 v55, v38, v29
	v_lshlrev_b32_sdwa v33, v32, v54 dst_sel:DWORD dst_unused:UNUSED_PAD src0_sel:DWORD src1_sel:WORD_0
	global_load_dwordx2 v[10:11], v10, s[8:9]
	v_lshlrev_b32_sdwa v52, v51, v52 dst_sel:DWORD dst_unused:UNUSED_PAD src0_sel:DWORD src1_sel:WORD_0
	v_mul_u32_u24_e32 v58, 0x58, v46
	v_lshlrev_b32_sdwa v31, v32, v55 dst_sel:DWORD dst_unused:UNUSED_PAD src0_sel:DWORD src1_sel:BYTE_0
	v_lshlrev_b32_sdwa v46, v51, v53 dst_sel:DWORD dst_unused:UNUSED_PAD src0_sel:DWORD src1_sel:WORD_0
	v_add3_u32 v48, 0, v48, v20
	v_mul_u32_u24_sdwa v20, v50, v56 dst_sel:DWORD dst_unused:UNUSED_PAD src0_sel:WORD_0 src1_sel:DWORD
	s_clause 0x4
	global_load_dwordx2 v[28:29], v28, s[8:9]
	global_load_dwordx2 v[36:37], v31, s[8:9]
	;; [unrolled: 1-line block ×5, first 2 shown]
	v_lshlrev_b32_sdwa v50, v51, v55 dst_sel:DWORD dst_unused:UNUSED_PAD src0_sel:DWORD src1_sel:BYTE_0
	v_lshlrev_b32_sdwa v47, v51, v54 dst_sel:DWORD dst_unused:UNUSED_PAD src0_sel:DWORD src1_sel:WORD_0
	v_mul_u32_u24_e32 v57, 0x58, v45
	v_mul_lo_u16 v45, v49, 22
	v_add3_u32 v49, 0, v59, v52
	v_add3_u32 v50, 0, v20, v50
	;; [unrolled: 1-line block ×4, first 2 shown]
	s_waitcnt vmcnt(0) lgkmcnt(0)
	s_barrier
	buffer_gl0_inv
	v_mul_f32_e32 v52, v9, v11
	v_mul_f32_e32 v20, v21, v29
	;; [unrolled: 1-line block ×6, first 2 shown]
	v_fma_f32 v52, v13, v10, -v52
	v_fma_f32 v53, v23, v36, -v53
	;; [unrolled: 1-line block ×6, first 2 shown]
	v_sub_f32_e32 v53, v24, v53
	v_sub_f32_e32 v54, v25, v54
	;; [unrolled: 1-line block ×6, first 2 shown]
	v_fma_f32 v24, v24, 2.0, -v53
	v_fma_f32 v25, v25, 2.0, -v54
	;; [unrolled: 1-line block ×5, first 2 shown]
	ds_write2_b32 v50, v24, v53 offset1:11
	ds_write2_b32 v46, v25, v54 offset1:11
	;; [unrolled: 1-line block ×5, first 2 shown]
	s_and_saveexec_b32 s1, s0
	s_cbranch_execz .LBB0_19
; %bb.18:
	v_lshlrev_b32_sdwa v22, v51, v44 dst_sel:DWORD dst_unused:UNUSED_PAD src0_sel:DWORD src1_sel:WORD_0
	v_lshlrev_b32_sdwa v24, v51, v45 dst_sel:DWORD dst_unused:UNUSED_PAD src0_sel:DWORD src1_sel:WORD_0
	v_fma_f32 v25, v41, 2.0, -v20
	v_add3_u32 v22, 0, v22, v24
	ds_write2_b32 v22, v25, v20 offset1:11
.LBB0_19:
	s_or_b32 exec_lo, exec_lo, s1
	v_mul_f32_e32 v22, v23, v37
	v_mul_f32_e32 v14, v14, v31
	;; [unrolled: 1-line block ×4, first 2 shown]
	v_add_nc_u32_e32 v41, 0x400, v40
	v_fmac_f32_e32 v22, v1, v36
	v_mul_f32_e32 v1, v42, v29
	v_add_nc_u32_e32 v36, 0xe00, v40
	v_add_nc_u32_e32 v35, 0x1200, v40
	v_lshl_add_u32 v37, v38, 2, 0
	v_fmac_f32_e32 v14, v6, v30
	v_fmac_f32_e32 v15, v7, v32
	v_fmac_f32_e32 v12, v8, v34
	v_fmac_f32_e32 v1, v21, v28
	s_waitcnt lgkmcnt(0)
	s_barrier
	buffer_gl0_inv
	ds_read2_b32 v[25:26], v40 offset1:154
	ds_read2_b32 v[31:32], v41 offset0:52 offset1:206
	ds_read_b32 v33, v40 offset:2464
	ds_read2_b32 v[29:30], v36 offset0:28 offset1:182
	ds_read2_b32 v[27:28], v35 offset0:80 offset1:234
	ds_read_b32 v34, v37 offset:3080
	ds_read_b32 v21, v40 offset:6160
	v_mul_f32_e32 v11, v13, v11
	v_sub_f32_e32 v6, v2, v22
	v_sub_f32_e32 v7, v3, v14
	;; [unrolled: 1-line block ×4, first 2 shown]
	v_fmac_f32_e32 v11, v9, v10
	v_sub_f32_e32 v9, v5, v12
	v_fma_f32 v2, v2, 2.0, -v6
	v_fma_f32 v3, v3, 2.0, -v7
	v_fma_f32 v4, v4, 2.0, -v8
	v_sub_f32_e32 v10, v0, v11
	v_fma_f32 v5, v5, 2.0, -v9
	s_waitcnt lgkmcnt(0)
	s_barrier
	buffer_gl0_inv
	v_fma_f32 v0, v0, 2.0, -v10
	ds_write2_b32 v50, v2, v6 offset1:11
	ds_write2_b32 v46, v3, v7 offset1:11
	;; [unrolled: 1-line block ×5, first 2 shown]
	s_and_saveexec_b32 s1, s0
	s_cbranch_execz .LBB0_21
; %bb.20:
	v_mov_b32_e32 v0, 2
	v_fma_f32 v2, v43, 2.0, -v22
	v_lshlrev_b32_sdwa v1, v0, v44 dst_sel:DWORD dst_unused:UNUSED_PAD src0_sel:DWORD src1_sel:WORD_0
	v_lshlrev_b32_sdwa v0, v0, v45 dst_sel:DWORD dst_unused:UNUSED_PAD src0_sel:DWORD src1_sel:WORD_0
	v_add3_u32 v0, 0, v1, v0
	ds_write2_b32 v0, v2, v22 offset1:11
.LBB0_21:
	s_or_b32 exec_lo, exec_lo, s1
	v_lshrrev_b16 v0, 1, v38
	v_mov_b32_e32 v1, 10
	s_waitcnt lgkmcnt(0)
	s_barrier
	buffer_gl0_inv
	v_and_b32_e32 v0, 0x7f, v0
	v_mov_b32_e32 v44, 2
	v_cmp_gt_u32_e64 s0, 0x58, v38
	v_mul_lo_u16 v0, 0xbb, v0
	v_lshrrev_b16 v42, 11, v0
	v_mul_lo_u16 v0, v42, 22
	v_sub_nc_u16 v43, v38, v0
	v_mul_u32_u24_sdwa v0, v43, v1 dst_sel:DWORD dst_unused:UNUSED_PAD src0_sel:BYTE_0 src1_sel:DWORD
	v_lshlrev_b32_e32 v23, 3, v0
	s_clause 0x4
	global_load_dwordx4 v[12:15], v23, s[8:9] offset:88
	global_load_dwordx4 v[8:11], v23, s[8:9] offset:104
	;; [unrolled: 1-line block ×5, first 2 shown]
	ds_read2_b32 v[23:24], v40 offset1:154
	ds_read2_b32 v[53:54], v41 offset0:52 offset1:206
	ds_read_b32 v59, v40 offset:2464
	ds_read_b32 v60, v37 offset:3080
	ds_read2_b32 v[55:56], v36 offset0:28 offset1:182
	ds_read2_b32 v[57:58], v35 offset0:80 offset1:234
	ds_read_b32 v61, v40 offset:6160
	v_mov_b32_e32 v41, 0x3c8
	v_add_nc_u32_e32 v35, 0x780, v40
	v_add_nc_u32_e32 v36, 0xf00, v40
	s_waitcnt vmcnt(0) lgkmcnt(0)
	s_barrier
	v_mul_u32_u24_sdwa v37, v42, v41 dst_sel:DWORD dst_unused:UNUSED_PAD src0_sel:WORD_0 src1_sel:DWORD
	v_lshlrev_b32_sdwa v41, v44, v43 dst_sel:DWORD dst_unused:UNUSED_PAD src0_sel:DWORD src1_sel:BYTE_0
	buffer_gl0_inv
	v_add3_u32 v37, 0, v37, v41
	v_mul_f32_e32 v48, v24, v13
	v_mul_f32_e32 v47, v26, v13
	;; [unrolled: 1-line block ×10, first 2 shown]
	v_fma_f32 v48, v26, v12, -v48
	v_mul_f32_e32 v46, v31, v15
	v_mul_f32_e32 v63, v59, v11
	;; [unrolled: 1-line block ×10, first 2 shown]
	v_fmac_f32_e32 v47, v24, v12
	v_fma_f32 v31, v31, v14, -v13
	v_fma_f32 v24, v30, v0, -v7
	v_fmac_f32_e32 v41, v56, v0
	v_fmac_f32_e32 v44, v61, v51
	v_add_f32_e32 v0, v25, v48
	v_fmac_f32_e32 v46, v53, v14
	v_fma_f32 v26, v32, v8, -v62
	v_fmac_f32_e32 v42, v54, v8
	v_fmac_f32_e32 v15, v59, v10
	;; [unrolled: 1-line block ×4, first 2 shown]
	v_fma_f32 v27, v27, v2, -v1
	v_fmac_f32_e32 v43, v57, v2
	v_fma_f32 v32, v21, v51, -v50
	v_fmac_f32_e32 v45, v58, v49
	v_sub_f32_e32 v2, v47, v44
	v_add_f32_e32 v0, v0, v31
	v_fma_f32 v14, v33, v10, -v63
	v_fma_f32 v8, v34, v4, -v11
	;; [unrolled: 1-line block ×4, first 2 shown]
	v_add_f32_e32 v1, v48, v32
	v_sub_f32_e32 v6, v46, v45
	v_sub_f32_e32 v10, v42, v43
	;; [unrolled: 1-line block ×4, first 2 shown]
	v_mul_f32_e32 v28, 0xbf0a6770, v2
	v_mul_f32_e32 v30, 0xbf68dda4, v2
	;; [unrolled: 1-line block ×4, first 2 shown]
	v_add_f32_e32 v0, v0, v26
	v_mul_f32_e32 v2, 0xbe903f40, v2
	v_add_f32_e32 v3, v31, v29
	v_add_f32_e32 v7, v26, v27
	;; [unrolled: 1-line block ×4, first 2 shown]
	v_mul_f32_e32 v49, 0xbf68dda4, v6
	v_mul_f32_e32 v50, 0xbf4178ce, v6
	;; [unrolled: 1-line block ×20, first 2 shown]
	v_fma_f32 v65, 0x3f575c64, v1, -v28
	v_fmac_f32_e32 v28, 0x3f575c64, v1
	v_fma_f32 v66, 0x3ed4b147, v1, -v30
	v_fmac_f32_e32 v30, 0x3ed4b147, v1
	;; [unrolled: 2-line block ×4, first 2 shown]
	v_add_f32_e32 v0, v0, v14
	v_fma_f32 v69, 0xbf75a155, v1, -v2
	v_fmac_f32_e32 v2, 0xbf75a155, v1
	v_fma_f32 v1, 0x3ed4b147, v3, -v49
	v_fmac_f32_e32 v49, 0x3ed4b147, v3
	v_fma_f32 v70, 0xbf27a4f4, v3, -v50
	v_fmac_f32_e32 v50, 0xbf27a4f4, v3
	v_fma_f32 v71, 0xbf75a155, v3, -v51
	v_fmac_f32_e32 v51, 0xbf75a155, v3
	v_fma_f32 v72, 0xbe11bafb, v3, -v52
	v_fmac_f32_e32 v52, 0xbe11bafb, v3
	v_fma_f32 v73, 0x3f575c64, v3, -v6
	v_fmac_f32_e32 v6, 0x3f575c64, v3
	v_fma_f32 v3, 0xbe11bafb, v7, -v53
	v_fmac_f32_e32 v53, 0xbe11bafb, v7
	v_fma_f32 v74, 0xbf75a155, v7, -v54
	v_fmac_f32_e32 v54, 0xbf75a155, v7
	v_fma_f32 v75, 0x3ed4b147, v7, -v55
	v_fmac_f32_e32 v55, 0x3ed4b147, v7
	v_fma_f32 v76, 0x3f575c64, v7, -v56
	v_fmac_f32_e32 v56, 0x3f575c64, v7
	v_fma_f32 v77, 0xbf27a4f4, v7, -v10
	v_fmac_f32_e32 v10, 0xbf27a4f4, v7
	v_fma_f32 v7, 0xbf27a4f4, v12, -v57
	v_fmac_f32_e32 v57, 0xbf27a4f4, v12
	v_fma_f32 v78, 0xbe11bafb, v12, -v58
	v_fmac_f32_e32 v58, 0xbe11bafb, v12
	v_fma_f32 v79, 0x3f575c64, v12, -v59
	v_fmac_f32_e32 v59, 0x3f575c64, v12
	v_fma_f32 v80, 0xbf75a155, v12, -v60
	v_fmac_f32_e32 v60, 0xbf75a155, v12
	v_fma_f32 v81, 0x3ed4b147, v12, -v11
	v_fmac_f32_e32 v11, 0x3ed4b147, v12
	v_fma_f32 v12, 0xbf75a155, v21, -v61
	v_fmac_f32_e32 v61, 0xbf75a155, v21
	v_fma_f32 v82, 0x3f575c64, v21, -v62
	v_fmac_f32_e32 v62, 0x3f575c64, v21
	v_fma_f32 v83, 0xbf27a4f4, v21, -v63
	v_fmac_f32_e32 v63, 0xbf27a4f4, v21
	v_fma_f32 v84, 0x3ed4b147, v21, -v64
	v_fmac_f32_e32 v64, 0x3ed4b147, v21
	v_fma_f32 v85, 0xbe11bafb, v21, -v13
	v_fmac_f32_e32 v13, 0xbe11bafb, v21
	v_add_f32_e32 v21, v25, v65
	v_add_f32_e32 v28, v25, v28
	;; [unrolled: 1-line block ×55, first 2 shown]
	ds_write2_b32 v37, v6, v7 offset0:44 offset1:66
	v_add_f32_e32 v6, v25, v32
	ds_write2_b32 v37, v10, v28 offset0:88 offset1:110
	ds_write2_b32 v37, v11, v0 offset0:132 offset1:154
	;; [unrolled: 1-line block ×3, first 2 shown]
	ds_write_b32 v37, v3 offset:880
	ds_write2_b32 v37, v6, v12 offset1:22
	s_waitcnt lgkmcnt(0)
	s_barrier
	buffer_gl0_inv
	ds_read2_b32 v[6:7], v40 offset1:242
	ds_read2_b32 v[10:11], v35 offset0:4 offset1:246
	ds_read2_b32 v[12:13], v36 offset0:8 offset1:250
	ds_read_b32 v30, v40 offset:5808
                                        ; implicit-def: $vgpr28
	s_and_saveexec_b32 s1, s0
	s_cbranch_execz .LBB0_23
; %bb.22:
	v_add_nc_u32_e32 v0, 0x240, v40
	v_add_nc_u32_e32 v2, 0x9e0, v40
	;; [unrolled: 1-line block ×3, first 2 shown]
	ds_read2_b32 v[0:1], v0 offset0:10 offset1:252
	ds_read2_b32 v[2:3], v2 offset0:6 offset1:248
	;; [unrolled: 1-line block ×3, first 2 shown]
	ds_read_b32 v28, v40 offset:6424
.LBB0_23:
	s_or_b32 exec_lo, exec_lo, s1
	v_add_f32_e32 v25, v23, v47
	v_sub_f32_e32 v32, v48, v32
	v_add_f32_e32 v33, v47, v44
	v_sub_f32_e32 v29, v31, v29
	v_add_f32_e32 v34, v46, v45
	v_add_f32_e32 v25, v25, v46
	v_mul_f32_e32 v31, 0xbf0a6770, v32
	v_mul_f32_e32 v46, 0xbf68dda4, v32
	;; [unrolled: 1-line block ×4, first 2 shown]
	v_add_f32_e32 v25, v25, v42
	v_mul_f32_e32 v32, 0xbe903f40, v32
	v_mul_f32_e32 v49, 0xbf68dda4, v29
	v_fmamk_f32 v52, v33, 0x3f575c64, v31
	v_mul_f32_e32 v50, 0xbf4178ce, v29
	v_add_f32_e32 v25, v25, v15
	v_fma_f32 v31, 0x3f575c64, v33, -v31
	v_fmamk_f32 v53, v33, 0x3ed4b147, v46
	v_fma_f32 v46, 0x3ed4b147, v33, -v46
	v_fmamk_f32 v54, v33, 0xbe11bafb, v47
	v_add_f32_e32 v25, v25, v5
	v_fma_f32 v47, 0xbe11bafb, v33, -v47
	v_fmamk_f32 v55, v33, 0xbf27a4f4, v48
	v_fma_f32 v48, 0xbf27a4f4, v33, -v48
	v_fmamk_f32 v56, v33, 0xbf75a155, v32
	v_add_f32_e32 v25, v25, v9
	v_fma_f32 v32, 0xbf75a155, v33, -v32
	v_fmamk_f32 v33, v34, 0x3ed4b147, v49
	v_add_f32_e32 v52, v23, v52
	v_mul_f32_e32 v51, 0x3e903f40, v29
	v_add_f32_e32 v25, v25, v41
	v_add_f32_e32 v31, v23, v31
	;; [unrolled: 1-line block ×8, first 2 shown]
	v_fmamk_f32 v57, v34, 0xbf27a4f4, v50
	v_sub_f32_e32 v26, v26, v27
	v_add_f32_e32 v25, v25, v45
	v_add_f32_e32 v45, v23, v48
	;; [unrolled: 1-line block ×5, first 2 shown]
	v_fma_f32 v33, 0xbf27a4f4, v34, -v50
	v_fma_f32 v50, 0xbf75a155, v34, -v51
	v_add_f32_e32 v42, v42, v43
	v_mul_f32_e32 v43, 0xbf7d64f0, v26
	v_fma_f32 v49, 0x3ed4b147, v34, -v49
	v_add_f32_e32 v33, v33, v46
	v_mul_f32_e32 v46, 0x3f7d64f0, v29
	v_mul_f32_e32 v29, 0x3f0a6770, v29
	v_add_f32_e32 v47, v50, v47
	v_add_f32_e32 v25, v25, v44
	v_fmamk_f32 v44, v34, 0xbf75a155, v51
	v_fmamk_f32 v27, v34, 0xbe11bafb, v46
	v_fma_f32 v46, 0xbe11bafb, v34, -v46
	v_fmamk_f32 v50, v34, 0x3f575c64, v29
	v_fma_f32 v29, 0x3f575c64, v34, -v29
	v_add_f32_e32 v31, v49, v31
	v_add_f32_e32 v44, v44, v54
	;; [unrolled: 1-line block ×4, first 2 shown]
	v_fmamk_f32 v46, v42, 0xbe11bafb, v43
	v_mul_f32_e32 v48, 0x3e903f40, v26
	v_add_f32_e32 v23, v29, v23
	v_fma_f32 v29, 0xbe11bafb, v42, -v43
	v_mul_f32_e32 v43, 0x3f68dda4, v26
	v_add_f32_e32 v32, v46, v32
	v_fmamk_f32 v46, v42, 0xbf75a155, v48
	v_fma_f32 v48, 0xbf75a155, v42, -v48
	v_add_f32_e32 v29, v29, v31
	v_fmamk_f32 v31, v42, 0x3ed4b147, v43
	v_sub_f32_e32 v14, v14, v24
	v_add_f32_e32 v27, v27, v55
	v_add_f32_e32 v33, v48, v33
	v_mul_f32_e32 v48, 0xbf0a6770, v26
	v_fma_f32 v43, 0x3ed4b147, v42, -v43
	v_add_f32_e32 v31, v31, v44
	v_mul_f32_e32 v24, 0xbf4178ce, v26
	v_add_f32_e32 v15, v15, v41
	v_fmamk_f32 v26, v42, 0x3f575c64, v48
	v_fma_f32 v44, 0x3f575c64, v42, -v48
	v_mul_f32_e32 v41, 0xbf4178ce, v14
	v_add_f32_e32 v43, v43, v47
	v_fmamk_f32 v47, v42, 0xbf27a4f4, v24
	v_add_f32_e32 v26, v26, v27
	v_add_f32_e32 v27, v44, v34
	v_fma_f32 v24, 0xbf27a4f4, v42, -v24
	v_fmamk_f32 v34, v15, 0xbf27a4f4, v41
	v_mul_f32_e32 v44, 0x3f7d64f0, v14
	v_fma_f32 v41, 0xbf27a4f4, v15, -v41
	v_sub_f32_e32 v4, v8, v4
	v_add_f32_e32 v23, v24, v23
	v_add_f32_e32 v24, v34, v32
	v_fmamk_f32 v34, v15, 0xbe11bafb, v44
	v_add_f32_e32 v29, v41, v29
	v_fma_f32 v41, 0xbe11bafb, v15, -v44
	v_mul_f32_e32 v44, 0xbe903f40, v14
	v_mul_f32_e32 v32, 0xbf0a6770, v14
	;; [unrolled: 1-line block ×3, first 2 shown]
	v_add_f32_e32 v42, v47, v45
	v_add_f32_e32 v33, v41, v33
	v_fmamk_f32 v41, v15, 0xbf75a155, v44
	v_fma_f32 v8, 0xbf75a155, v15, -v44
	v_add_f32_e32 v5, v5, v9
	v_mul_f32_e32 v9, 0xbe903f40, v4
	v_add_f32_e32 v49, v57, v53
	v_add_f32_e32 v26, v41, v26
	v_fmamk_f32 v41, v15, 0x3ed4b147, v14
	v_fma_f32 v14, 0x3ed4b147, v15, -v14
	v_fmamk_f32 v45, v15, 0x3f575c64, v32
	v_fma_f32 v32, 0x3f575c64, v15, -v32
	v_add_f32_e32 v15, v8, v27
	v_add_f32_e32 v27, v41, v42
	v_mul_f32_e32 v8, 0x3f0a6770, v4
	v_fmamk_f32 v41, v5, 0xbf75a155, v9
	v_add_f32_e32 v14, v14, v23
	v_fma_f32 v9, 0xbf75a155, v5, -v9
	v_mul_f32_e32 v23, 0xbf4178ce, v4
	v_add_f32_e32 v46, v46, v49
	v_add_f32_e32 v31, v45, v31
	v_fmamk_f32 v42, v5, 0x3f575c64, v8
	v_add_f32_e32 v24, v41, v24
	v_fma_f32 v8, 0x3f575c64, v5, -v8
	v_add_f32_e32 v9, v9, v29
	v_fmamk_f32 v29, v5, 0xbf27a4f4, v23
	v_mul_f32_e32 v41, 0x3f68dda4, v4
	v_mul_f32_e32 v4, 0xbf7d64f0, v4
	v_add_f32_e32 v34, v34, v46
	v_add_f32_e32 v32, v32, v43
	;; [unrolled: 1-line block ×4, first 2 shown]
	v_fma_f32 v23, 0xbf27a4f4, v5, -v23
	v_fmamk_f32 v31, v5, 0x3ed4b147, v41
	v_fma_f32 v33, 0x3ed4b147, v5, -v41
	v_fmamk_f32 v41, v5, 0xbe11bafb, v4
	v_add_f32_e32 v34, v42, v34
	v_fma_f32 v42, 0xbe11bafb, v5, -v4
	v_add_f32_e32 v5, v23, v32
	v_add_f32_e32 v23, v31, v26
	;; [unrolled: 1-line block ×5, first 2 shown]
	s_waitcnt lgkmcnt(0)
	s_barrier
	buffer_gl0_inv
	ds_write2_b32 v37, v25, v24 offset1:22
	ds_write2_b32 v37, v34, v29 offset0:44 offset1:66
	ds_write2_b32 v37, v23, v15 offset0:88 offset1:110
	;; [unrolled: 1-line block ×4, first 2 shown]
	ds_write_b32 v37, v9 offset:880
	s_waitcnt lgkmcnt(0)
	s_barrier
	buffer_gl0_inv
	ds_read2_b32 v[14:15], v40 offset1:242
	ds_read2_b32 v[24:25], v35 offset0:4 offset1:246
	ds_read2_b32 v[26:27], v36 offset0:8 offset1:250
	ds_read_b32 v31, v40 offset:5808
                                        ; implicit-def: $vgpr29
	s_and_saveexec_b32 s1, s0
	s_cbranch_execz .LBB0_25
; %bb.24:
	v_add_nc_u32_e32 v4, 0x240, v40
	v_add_nc_u32_e32 v8, 0x9e0, v40
	;; [unrolled: 1-line block ×3, first 2 shown]
	ds_read2_b32 v[4:5], v4 offset0:10 offset1:252
	ds_read2_b32 v[8:9], v8 offset0:6 offset1:248
	;; [unrolled: 1-line block ×3, first 2 shown]
	ds_read_b32 v29, v40 offset:6424
.LBB0_25:
	s_or_b32 exec_lo, exec_lo, s1
	s_and_saveexec_b32 s1, vcc_lo
	s_cbranch_execz .LBB0_28
; %bb.26:
	v_mul_u32_u24_e32 v32, 6, v38
	v_mul_lo_u32 v37, s3, v18
	v_mul_lo_u32 v48, s2, v19
	v_mad_u64_u32 v[18:19], null, s2, v18, 0
	v_lshlrev_b32_e32 v36, 3, v32
	v_lshlrev_b64 v[16:17], 3, v[16:17]
	s_clause 0x2
	global_load_dwordx4 v[32:35], v36, s[8:9] offset:1848
	global_load_dwordx4 v[40:43], v36, s[8:9] offset:1880
	;; [unrolled: 1-line block ×3, first 2 shown]
	v_add3_u32 v19, v19, v48, v37
	v_lshrrev_b32_e32 v36, 1, v38
	v_lshlrev_b64 v[18:19], 3, v[18:19]
	v_mul_hi_u32 v36, 0x43b3d5b, v36
	v_add_co_u32 v18, vcc_lo, s14, v18
	v_add_co_ci_u32_e32 v19, vcc_lo, s15, v19, vcc_lo
	v_lshrrev_b32_e32 v36, 1, v36
	v_add_co_u32 v18, vcc_lo, v18, v16
	v_add_co_ci_u32_e32 v19, vcc_lo, v19, v17, vcc_lo
	v_mul_lo_u32 v36, 0xf2, v36
	v_add_nc_u32_e32 v16, 0x9a, v38
	v_sub_nc_u32_e32 v36, v38, v36
	v_lshlrev_b32_e32 v36, 3, v36
	v_add_co_u32 v36, vcc_lo, v18, v36
	v_add_co_ci_u32_e32 v37, vcc_lo, 0, v19, vcc_lo
	v_cmp_gt_u32_e32 vcc_lo, 0xf2, v16
	v_add_co_u32 v48, s1, 0x800, v36
	v_add_co_ci_u32_e64 v49, s1, 0, v37, s1
	v_add_co_u32 v50, s1, 0x1000, v36
	v_add_co_ci_u32_e64 v51, s1, 0, v37, s1
	;; [unrolled: 2-line block ×5, first 2 shown]
	s_waitcnt vmcnt(2) lgkmcnt(3)
	v_mul_f32_e32 v17, v15, v33
	s_waitcnt vmcnt(1) lgkmcnt(0)
	v_mul_f32_e32 v58, v31, v43
	v_mul_f32_e32 v61, v24, v35
	;; [unrolled: 1-line block ×7, first 2 shown]
	s_waitcnt vmcnt(0)
	v_mul_f32_e32 v59, v26, v47
	v_mul_f32_e32 v60, v25, v45
	;; [unrolled: 1-line block ×4, first 2 shown]
	v_fma_f32 v7, v7, v32, -v17
	v_fma_f32 v17, v30, v42, -v58
	;; [unrolled: 1-line block ×4, first 2 shown]
	v_fmac_f32_e32 v43, v31, v42
	v_fmac_f32_e32 v33, v15, v32
	;; [unrolled: 1-line block ×4, first 2 shown]
	v_fma_f32 v12, v12, v46, -v59
	v_fma_f32 v11, v11, v44, -v60
	v_fmac_f32_e32 v45, v25, v44
	v_fmac_f32_e32 v47, v26, v46
	v_sub_f32_e32 v15, v7, v17
	v_sub_f32_e32 v25, v10, v13
	v_add_f32_e32 v26, v33, v43
	v_add_f32_e32 v30, v35, v41
	;; [unrolled: 1-line block ×4, first 2 shown]
	v_sub_f32_e32 v24, v12, v11
	v_add_f32_e32 v27, v47, v45
	v_add_f32_e32 v11, v12, v11
	v_sub_f32_e32 v12, v33, v43
	v_sub_f32_e32 v13, v47, v45
	;; [unrolled: 1-line block ×3, first 2 shown]
	v_add_f32_e32 v35, v26, v30
	v_add_f32_e32 v42, v7, v10
	v_sub_f32_e32 v31, v15, v24
	v_sub_f32_e32 v32, v24, v25
	v_add_f32_e32 v24, v24, v25
	v_sub_f32_e32 v33, v26, v27
	v_sub_f32_e32 v34, v27, v30
	;; [unrolled: 1-line block ×6, first 2 shown]
	v_add_f32_e32 v13, v13, v17
	v_sub_f32_e32 v25, v25, v15
	v_sub_f32_e32 v17, v17, v12
	v_add_f32_e32 v27, v27, v35
	v_add_f32_e32 v11, v11, v42
	v_sub_f32_e32 v26, v30, v26
	v_sub_f32_e32 v10, v10, v7
	v_mul_f32_e32 v30, 0xbf08b237, v32
	v_add_f32_e32 v15, v15, v24
	v_mul_f32_e32 v24, 0x3f4a47b2, v33
	v_mul_f32_e32 v32, 0x3d64c772, v34
	;; [unrolled: 1-line block ×5, first 2 shown]
	v_add_f32_e32 v12, v12, v13
	v_mul_f32_e32 v13, 0x3f5ff5aa, v25
	v_mul_f32_e32 v42, 0x3f5ff5aa, v17
	v_add_f32_e32 v7, v14, v27
	v_add_f32_e32 v6, v6, v11
	v_fmamk_f32 v44, v31, 0x3eae86e6, v30
	v_fmamk_f32 v33, v33, 0x3f4a47b2, v32
	;; [unrolled: 1-line block ×4, first 2 shown]
	v_fma_f32 v31, 0xbeae86e6, v31, -v13
	v_fma_f32 v13, 0xbf3bfb3b, v26, -v24
	v_fma_f32 v24, 0xbf3bfb3b, v10, -v34
	v_fma_f32 v34, 0xbeae86e6, v43, -v42
	v_fma_f32 v17, 0x3f5ff5aa, v17, -v41
	v_fmamk_f32 v27, v27, 0xbf955555, v7
	v_fmamk_f32 v11, v11, 0xbf955555, v6
	v_fma_f32 v26, 0x3f3bfb3b, v26, -v32
	v_fma_f32 v25, 0x3f5ff5aa, v25, -v30
	;; [unrolled: 1-line block ×3, first 2 shown]
	v_fmac_f32_e32 v44, 0x3ee1c552, v15
	v_fmac_f32_e32 v40, 0x3ee1c552, v12
	;; [unrolled: 1-line block ×4, first 2 shown]
	v_add_f32_e32 v12, v33, v27
	v_add_f32_e32 v14, v14, v11
	v_fmac_f32_e32 v31, 0x3ee1c552, v15
	v_fmac_f32_e32 v25, 0x3ee1c552, v15
	v_add_f32_e32 v30, v13, v27
	v_add_f32_e32 v32, v24, v11
	;; [unrolled: 1-line block ×4, first 2 shown]
	v_sub_f32_e32 v27, v12, v44
	v_add_f32_e32 v26, v40, v14
	v_add_f32_e32 v24, v34, v32
	v_sub_f32_e32 v13, v15, v25
	v_add_f32_e32 v15, v25, v15
	v_sub_f32_e32 v25, v30, v31
	global_store_dwordx2 v[36:37], v[6:7], off
	v_sub_f32_e32 v6, v14, v40
	v_sub_f32_e32 v14, v10, v17
	v_add_f32_e32 v7, v44, v12
	v_add_f32_e32 v12, v17, v10
	;; [unrolled: 1-line block ×3, first 2 shown]
	v_sub_f32_e32 v10, v32, v34
	global_store_dwordx2 v[36:37], v[26:27], off offset:1936
	global_store_dwordx2 v[48:49], v[24:25], off offset:1824
	;; [unrolled: 1-line block ×6, first 2 shown]
	s_and_b32 exec_lo, exec_lo, vcc_lo
	s_cbranch_execz .LBB0_28
; %bb.27:
	v_add_nc_u32_e32 v6, 0xffffffa8, v38
	v_mov_b32_e32 v7, 0
	v_cndmask_b32_e64 v6, v6, v39, s0
	v_mov_b32_e32 v17, v7
	v_mul_i32_i24_e32 v6, 6, v6
	v_lshlrev_b64 v[10:11], 3, v[6:7]
	v_add_nc_u32_e32 v6, 0x18c, v38
	v_add_co_u32 v14, vcc_lo, s8, v10
	v_add_co_ci_u32_e32 v15, vcc_lo, s9, v11, vcc_lo
	s_clause 0x2
	global_load_dwordx4 v[10:13], v[14:15], off offset:1848
	global_load_dwordx4 v[24:27], v[14:15], off offset:1864
	;; [unrolled: 1-line block ×3, first 2 shown]
	v_lshlrev_b64 v[14:15], 3, v[16:17]
	v_lshlrev_b64 v[16:17], 3, v[6:7]
	v_add_nc_u32_e32 v6, 0x27e, v38
	v_add_co_u32 v14, vcc_lo, v18, v14
	v_lshlrev_b64 v[34:35], 3, v[6:7]
	v_add_nc_u32_e32 v6, 0x370, v38
	v_add_co_ci_u32_e32 v15, vcc_lo, v19, v15, vcc_lo
	v_add_co_u32 v16, vcc_lo, v18, v16
	v_lshlrev_b64 v[36:37], 3, v[6:7]
	v_add_nc_u32_e32 v6, 0x462, v38
	v_add_co_ci_u32_e32 v17, vcc_lo, v19, v17, vcc_lo
	;; [unrolled: 4-line block ×4, first 2 shown]
	v_add_co_u32 v38, vcc_lo, v18, v39
	v_lshlrev_b64 v[6:7], 3, v[6:7]
	v_add_co_ci_u32_e32 v39, vcc_lo, v19, v40, vcc_lo
	v_add_co_u32 v40, vcc_lo, v18, v41
	v_add_co_ci_u32_e32 v41, vcc_lo, v19, v42, vcc_lo
	v_add_co_u32 v6, vcc_lo, v18, v6
	v_add_co_ci_u32_e32 v7, vcc_lo, v19, v7, vcc_lo
	s_waitcnt vmcnt(2)
	v_mul_f32_e32 v18, v5, v11
	v_mul_f32_e32 v11, v1, v11
	;; [unrolled: 1-line block ×4, first 2 shown]
	s_waitcnt vmcnt(1)
	v_mul_f32_e32 v42, v9, v25
	v_mul_f32_e32 v25, v3, v25
	s_waitcnt vmcnt(0)
	v_mul_f32_e32 v44, v23, v31
	v_mul_f32_e32 v31, v21, v31
	;; [unrolled: 1-line block ×6, first 2 shown]
	v_fma_f32 v1, v1, v10, -v18
	v_fmac_f32_e32 v11, v5, v10
	v_fma_f32 v2, v2, v12, -v19
	v_fmac_f32_e32 v13, v8, v12
	v_fmac_f32_e32 v25, v9, v24
	v_fma_f32 v8, v28, v32, -v45
	v_fmac_f32_e32 v33, v29, v32
	v_fma_f32 v9, v21, v30, -v44
	;; [unrolled: 2-line block ×3, first 2 shown]
	v_fma_f32 v5, v20, v26, -v43
	v_fmac_f32_e32 v27, v22, v26
	v_add_f32_e32 v10, v1, v8
	v_add_f32_e32 v12, v11, v33
	v_sub_f32_e32 v1, v1, v8
	v_sub_f32_e32 v8, v11, v33
	v_add_f32_e32 v11, v2, v9
	v_add_f32_e32 v18, v13, v31
	v_sub_f32_e32 v2, v2, v9
	v_sub_f32_e32 v9, v13, v31
	;; [unrolled: 4-line block ×4, first 2 shown]
	v_sub_f32_e32 v10, v10, v13
	v_sub_f32_e32 v12, v12, v19
	;; [unrolled: 1-line block ×4, first 2 shown]
	v_add_f32_e32 v24, v3, v2
	v_add_f32_e32 v25, v5, v9
	v_sub_f32_e32 v26, v3, v2
	v_sub_f32_e32 v27, v5, v9
	;; [unrolled: 1-line block ×3, first 2 shown]
	v_add_f32_e32 v13, v13, v20
	v_add_f32_e32 v19, v19, v21
	v_sub_f32_e32 v9, v9, v8
	v_sub_f32_e32 v3, v1, v3
	;; [unrolled: 1-line block ×3, first 2 shown]
	v_add_f32_e32 v20, v24, v1
	v_add_f32_e32 v8, v25, v8
	v_mul_f32_e32 v10, 0x3f4a47b2, v10
	v_mul_f32_e32 v12, 0x3f4a47b2, v12
	;; [unrolled: 1-line block ×7, first 2 shown]
	v_add_f32_e32 v0, v0, v13
	v_add_f32_e32 v1, v4, v19
	v_mul_f32_e32 v28, 0x3f5ff5aa, v9
	v_fmamk_f32 v4, v11, 0x3d64c772, v10
	v_fmamk_f32 v11, v18, 0x3d64c772, v12
	v_fma_f32 v18, 0x3f3bfb3b, v22, -v21
	v_fma_f32 v21, 0x3f3bfb3b, v23, -v24
	;; [unrolled: 1-line block ×4, first 2 shown]
	v_fmamk_f32 v22, v3, 0x3eae86e6, v25
	v_fmamk_f32 v23, v5, 0x3eae86e6, v26
	v_fma_f32 v24, 0x3f5ff5aa, v2, -v25
	v_fma_f32 v25, 0xbeae86e6, v3, -v27
	v_fmamk_f32 v2, v13, 0xbf955555, v0
	v_fmamk_f32 v3, v19, 0xbf955555, v1
	v_fma_f32 v9, 0x3f5ff5aa, v9, -v26
	v_fma_f32 v26, 0xbeae86e6, v5, -v28
	v_fmac_f32_e32 v22, 0x3ee1c552, v20
	v_fmac_f32_e32 v23, 0x3ee1c552, v8
	global_store_dwordx2 v[14:15], v[0:1], off
	v_add_f32_e32 v13, v4, v2
	v_add_f32_e32 v14, v11, v3
	v_fmac_f32_e32 v25, 0x3ee1c552, v20
	v_fmac_f32_e32 v26, 0x3ee1c552, v8
	v_add_f32_e32 v10, v10, v2
	v_add_f32_e32 v11, v12, v3
	v_fmac_f32_e32 v24, 0x3ee1c552, v20
	v_fmac_f32_e32 v9, 0x3ee1c552, v8
	v_add_f32_e32 v8, v18, v2
	v_add_f32_e32 v12, v21, v3
	;; [unrolled: 1-line block ×3, first 2 shown]
	v_sub_f32_e32 v1, v14, v22
	v_add_f32_e32 v2, v26, v10
	v_sub_f32_e32 v3, v11, v25
	v_sub_f32_e32 v4, v8, v9
	v_add_f32_e32 v5, v24, v12
	v_add_f32_e32 v8, v9, v8
	v_sub_f32_e32 v9, v12, v24
	v_sub_f32_e32 v10, v10, v26
	v_add_f32_e32 v11, v25, v11
	v_sub_f32_e32 v12, v13, v23
	v_add_f32_e32 v13, v22, v14
	global_store_dwordx2 v[16:17], v[0:1], off
	global_store_dwordx2 v[34:35], v[2:3], off
	;; [unrolled: 1-line block ×6, first 2 shown]
.LBB0_28:
	s_endpgm
	.section	.rodata,"a",@progbits
	.p2align	6, 0x0
	.amdhsa_kernel fft_rtc_fwd_len1694_factors_11_2_11_7_wgs_154_tpt_154_halfLds_sp_op_CI_CI_unitstride_sbrr_dirReg
		.amdhsa_group_segment_fixed_size 0
		.amdhsa_private_segment_fixed_size 0
		.amdhsa_kernarg_size 104
		.amdhsa_user_sgpr_count 6
		.amdhsa_user_sgpr_private_segment_buffer 1
		.amdhsa_user_sgpr_dispatch_ptr 0
		.amdhsa_user_sgpr_queue_ptr 0
		.amdhsa_user_sgpr_kernarg_segment_ptr 1
		.amdhsa_user_sgpr_dispatch_id 0
		.amdhsa_user_sgpr_flat_scratch_init 0
		.amdhsa_user_sgpr_private_segment_size 0
		.amdhsa_wavefront_size32 1
		.amdhsa_uses_dynamic_stack 0
		.amdhsa_system_sgpr_private_segment_wavefront_offset 0
		.amdhsa_system_sgpr_workgroup_id_x 1
		.amdhsa_system_sgpr_workgroup_id_y 0
		.amdhsa_system_sgpr_workgroup_id_z 0
		.amdhsa_system_sgpr_workgroup_info 0
		.amdhsa_system_vgpr_workitem_id 0
		.amdhsa_next_free_vgpr 86
		.amdhsa_next_free_sgpr 27
		.amdhsa_reserve_vcc 1
		.amdhsa_reserve_flat_scratch 0
		.amdhsa_float_round_mode_32 0
		.amdhsa_float_round_mode_16_64 0
		.amdhsa_float_denorm_mode_32 3
		.amdhsa_float_denorm_mode_16_64 3
		.amdhsa_dx10_clamp 1
		.amdhsa_ieee_mode 1
		.amdhsa_fp16_overflow 0
		.amdhsa_workgroup_processor_mode 1
		.amdhsa_memory_ordered 1
		.amdhsa_forward_progress 0
		.amdhsa_shared_vgpr_count 0
		.amdhsa_exception_fp_ieee_invalid_op 0
		.amdhsa_exception_fp_denorm_src 0
		.amdhsa_exception_fp_ieee_div_zero 0
		.amdhsa_exception_fp_ieee_overflow 0
		.amdhsa_exception_fp_ieee_underflow 0
		.amdhsa_exception_fp_ieee_inexact 0
		.amdhsa_exception_int_div_zero 0
	.end_amdhsa_kernel
	.text
.Lfunc_end0:
	.size	fft_rtc_fwd_len1694_factors_11_2_11_7_wgs_154_tpt_154_halfLds_sp_op_CI_CI_unitstride_sbrr_dirReg, .Lfunc_end0-fft_rtc_fwd_len1694_factors_11_2_11_7_wgs_154_tpt_154_halfLds_sp_op_CI_CI_unitstride_sbrr_dirReg
                                        ; -- End function
	.section	.AMDGPU.csdata,"",@progbits
; Kernel info:
; codeLenInByte = 9488
; NumSgprs: 29
; NumVgprs: 86
; ScratchSize: 0
; MemoryBound: 0
; FloatMode: 240
; IeeeMode: 1
; LDSByteSize: 0 bytes/workgroup (compile time only)
; SGPRBlocks: 3
; VGPRBlocks: 10
; NumSGPRsForWavesPerEU: 29
; NumVGPRsForWavesPerEU: 86
; Occupancy: 10
; WaveLimiterHint : 1
; COMPUTE_PGM_RSRC2:SCRATCH_EN: 0
; COMPUTE_PGM_RSRC2:USER_SGPR: 6
; COMPUTE_PGM_RSRC2:TRAP_HANDLER: 0
; COMPUTE_PGM_RSRC2:TGID_X_EN: 1
; COMPUTE_PGM_RSRC2:TGID_Y_EN: 0
; COMPUTE_PGM_RSRC2:TGID_Z_EN: 0
; COMPUTE_PGM_RSRC2:TIDIG_COMP_CNT: 0
	.text
	.p2alignl 6, 3214868480
	.fill 48, 4, 3214868480
	.type	__hip_cuid_3a68451238fc0ee5,@object ; @__hip_cuid_3a68451238fc0ee5
	.section	.bss,"aw",@nobits
	.globl	__hip_cuid_3a68451238fc0ee5
__hip_cuid_3a68451238fc0ee5:
	.byte	0                               ; 0x0
	.size	__hip_cuid_3a68451238fc0ee5, 1

	.ident	"AMD clang version 19.0.0git (https://github.com/RadeonOpenCompute/llvm-project roc-6.4.0 25133 c7fe45cf4b819c5991fe208aaa96edf142730f1d)"
	.section	".note.GNU-stack","",@progbits
	.addrsig
	.addrsig_sym __hip_cuid_3a68451238fc0ee5
	.amdgpu_metadata
---
amdhsa.kernels:
  - .args:
      - .actual_access:  read_only
        .address_space:  global
        .offset:         0
        .size:           8
        .value_kind:     global_buffer
      - .offset:         8
        .size:           8
        .value_kind:     by_value
      - .actual_access:  read_only
        .address_space:  global
        .offset:         16
        .size:           8
        .value_kind:     global_buffer
      - .actual_access:  read_only
        .address_space:  global
        .offset:         24
        .size:           8
        .value_kind:     global_buffer
      - .actual_access:  read_only
        .address_space:  global
        .offset:         32
        .size:           8
        .value_kind:     global_buffer
      - .offset:         40
        .size:           8
        .value_kind:     by_value
      - .actual_access:  read_only
        .address_space:  global
        .offset:         48
        .size:           8
        .value_kind:     global_buffer
      - .actual_access:  read_only
        .address_space:  global
        .offset:         56
        .size:           8
        .value_kind:     global_buffer
      - .offset:         64
        .size:           4
        .value_kind:     by_value
      - .actual_access:  read_only
        .address_space:  global
        .offset:         72
        .size:           8
        .value_kind:     global_buffer
      - .actual_access:  read_only
        .address_space:  global
        .offset:         80
        .size:           8
        .value_kind:     global_buffer
      - .actual_access:  read_only
        .address_space:  global
        .offset:         88
        .size:           8
        .value_kind:     global_buffer
      - .actual_access:  write_only
        .address_space:  global
        .offset:         96
        .size:           8
        .value_kind:     global_buffer
    .group_segment_fixed_size: 0
    .kernarg_segment_align: 8
    .kernarg_segment_size: 104
    .language:       OpenCL C
    .language_version:
      - 2
      - 0
    .max_flat_workgroup_size: 154
    .name:           fft_rtc_fwd_len1694_factors_11_2_11_7_wgs_154_tpt_154_halfLds_sp_op_CI_CI_unitstride_sbrr_dirReg
    .private_segment_fixed_size: 0
    .sgpr_count:     29
    .sgpr_spill_count: 0
    .symbol:         fft_rtc_fwd_len1694_factors_11_2_11_7_wgs_154_tpt_154_halfLds_sp_op_CI_CI_unitstride_sbrr_dirReg.kd
    .uniform_work_group_size: 1
    .uses_dynamic_stack: false
    .vgpr_count:     86
    .vgpr_spill_count: 0
    .wavefront_size: 32
    .workgroup_processor_mode: 1
amdhsa.target:   amdgcn-amd-amdhsa--gfx1030
amdhsa.version:
  - 1
  - 2
...

	.end_amdgpu_metadata
